;; amdgpu-corpus repo=ROCm/rocFFT kind=compiled arch=gfx1201 opt=O3
	.text
	.amdgcn_target "amdgcn-amd-amdhsa--gfx1201"
	.amdhsa_code_object_version 6
	.protected	fft_rtc_back_len1568_factors_2_2_2_2_2_7_7_wgs_224_tpt_224_halfLds_dp_op_CI_CI_unitstride_sbrr_dirReg ; -- Begin function fft_rtc_back_len1568_factors_2_2_2_2_2_7_7_wgs_224_tpt_224_halfLds_dp_op_CI_CI_unitstride_sbrr_dirReg
	.globl	fft_rtc_back_len1568_factors_2_2_2_2_2_7_7_wgs_224_tpt_224_halfLds_dp_op_CI_CI_unitstride_sbrr_dirReg
	.p2align	8
	.type	fft_rtc_back_len1568_factors_2_2_2_2_2_7_7_wgs_224_tpt_224_halfLds_dp_op_CI_CI_unitstride_sbrr_dirReg,@function
fft_rtc_back_len1568_factors_2_2_2_2_2_7_7_wgs_224_tpt_224_halfLds_dp_op_CI_CI_unitstride_sbrr_dirReg: ; @fft_rtc_back_len1568_factors_2_2_2_2_2_7_7_wgs_224_tpt_224_halfLds_dp_op_CI_CI_unitstride_sbrr_dirReg
; %bb.0:
	s_clause 0x2
	s_load_b128 s[8:11], s[0:1], 0x0
	s_load_b128 s[4:7], s[0:1], 0x58
	;; [unrolled: 1-line block ×3, first 2 shown]
	v_mul_u32_u24_e32 v1, 0x125, v0
	v_mov_b32_e32 v3, 0
	s_delay_alu instid0(VALU_DEP_2) | instskip(NEXT) | instid1(VALU_DEP_1)
	v_lshrrev_b32_e32 v1, 16, v1
	v_add_nc_u32_e32 v5, ttmp9, v1
	v_mov_b32_e32 v1, 0
	v_mov_b32_e32 v2, 0
	;; [unrolled: 1-line block ×3, first 2 shown]
	s_wait_kmcnt 0x0
	v_cmp_lt_u64_e64 s2, s[10:11], 2
	s_delay_alu instid0(VALU_DEP_1)
	s_and_b32 vcc_lo, exec_lo, s2
	s_cbranch_vccnz .LBB0_8
; %bb.1:
	s_load_b64 s[2:3], s[0:1], 0x10
	v_mov_b32_e32 v1, 0
	v_mov_b32_e32 v2, 0
	s_add_nc_u64 s[16:17], s[14:15], 8
	s_add_nc_u64 s[18:19], s[12:13], 8
	s_mov_b64 s[20:21], 1
	s_delay_alu instid0(VALU_DEP_1)
	v_dual_mov_b32 v45, v2 :: v_dual_mov_b32 v44, v1
	s_wait_kmcnt 0x0
	s_add_nc_u64 s[22:23], s[2:3], 8
	s_mov_b32 s3, 0
.LBB0_2:                                ; =>This Inner Loop Header: Depth=1
	s_load_b64 s[24:25], s[22:23], 0x0
                                        ; implicit-def: $vgpr46_vgpr47
	s_mov_b32 s2, exec_lo
	s_wait_kmcnt 0x0
	v_or_b32_e32 v4, s25, v6
	s_delay_alu instid0(VALU_DEP_1)
	v_cmpx_ne_u64_e32 0, v[3:4]
	s_wait_alu 0xfffe
	s_xor_b32 s26, exec_lo, s2
	s_cbranch_execz .LBB0_4
; %bb.3:                                ;   in Loop: Header=BB0_2 Depth=1
	s_cvt_f32_u32 s2, s24
	s_cvt_f32_u32 s27, s25
	s_sub_nc_u64 s[30:31], 0, s[24:25]
	s_wait_alu 0xfffe
	s_delay_alu instid0(SALU_CYCLE_1) | instskip(SKIP_1) | instid1(SALU_CYCLE_2)
	s_fmamk_f32 s2, s27, 0x4f800000, s2
	s_wait_alu 0xfffe
	v_s_rcp_f32 s2, s2
	s_delay_alu instid0(TRANS32_DEP_1) | instskip(SKIP_1) | instid1(SALU_CYCLE_2)
	s_mul_f32 s2, s2, 0x5f7ffffc
	s_wait_alu 0xfffe
	s_mul_f32 s27, s2, 0x2f800000
	s_wait_alu 0xfffe
	s_delay_alu instid0(SALU_CYCLE_2) | instskip(SKIP_1) | instid1(SALU_CYCLE_2)
	s_trunc_f32 s27, s27
	s_wait_alu 0xfffe
	s_fmamk_f32 s2, s27, 0xcf800000, s2
	s_cvt_u32_f32 s29, s27
	s_wait_alu 0xfffe
	s_delay_alu instid0(SALU_CYCLE_1) | instskip(SKIP_1) | instid1(SALU_CYCLE_2)
	s_cvt_u32_f32 s28, s2
	s_wait_alu 0xfffe
	s_mul_u64 s[34:35], s[30:31], s[28:29]
	s_wait_alu 0xfffe
	s_mul_hi_u32 s37, s28, s35
	s_mul_i32 s36, s28, s35
	s_mul_hi_u32 s2, s28, s34
	s_mul_i32 s33, s29, s34
	s_wait_alu 0xfffe
	s_add_nc_u64 s[36:37], s[2:3], s[36:37]
	s_mul_hi_u32 s27, s29, s34
	s_mul_hi_u32 s38, s29, s35
	s_add_co_u32 s2, s36, s33
	s_wait_alu 0xfffe
	s_add_co_ci_u32 s2, s37, s27
	s_mul_i32 s34, s29, s35
	s_add_co_ci_u32 s35, s38, 0
	s_wait_alu 0xfffe
	s_add_nc_u64 s[34:35], s[2:3], s[34:35]
	s_wait_alu 0xfffe
	v_add_co_u32 v4, s2, s28, s34
	s_delay_alu instid0(VALU_DEP_1) | instskip(SKIP_1) | instid1(VALU_DEP_1)
	s_cmp_lg_u32 s2, 0
	s_add_co_ci_u32 s29, s29, s35
	v_readfirstlane_b32 s28, v4
	s_wait_alu 0xfffe
	s_delay_alu instid0(VALU_DEP_1)
	s_mul_u64 s[30:31], s[30:31], s[28:29]
	s_wait_alu 0xfffe
	s_mul_hi_u32 s35, s28, s31
	s_mul_i32 s34, s28, s31
	s_mul_hi_u32 s2, s28, s30
	s_mul_i32 s33, s29, s30
	s_wait_alu 0xfffe
	s_add_nc_u64 s[34:35], s[2:3], s[34:35]
	s_mul_hi_u32 s27, s29, s30
	s_mul_hi_u32 s28, s29, s31
	s_wait_alu 0xfffe
	s_add_co_u32 s2, s34, s33
	s_add_co_ci_u32 s2, s35, s27
	s_mul_i32 s30, s29, s31
	s_add_co_ci_u32 s31, s28, 0
	s_wait_alu 0xfffe
	s_add_nc_u64 s[30:31], s[2:3], s[30:31]
	s_wait_alu 0xfffe
	v_add_co_u32 v4, s2, v4, s30
	s_delay_alu instid0(VALU_DEP_1) | instskip(SKIP_1) | instid1(VALU_DEP_1)
	s_cmp_lg_u32 s2, 0
	s_add_co_ci_u32 s2, s29, s31
	v_mul_hi_u32 v13, v5, v4
	s_wait_alu 0xfffe
	v_mad_co_u64_u32 v[7:8], null, v5, s2, 0
	v_mad_co_u64_u32 v[9:10], null, v6, v4, 0
	;; [unrolled: 1-line block ×3, first 2 shown]
	s_delay_alu instid0(VALU_DEP_3) | instskip(SKIP_1) | instid1(VALU_DEP_4)
	v_add_co_u32 v4, vcc_lo, v13, v7
	s_wait_alu 0xfffd
	v_add_co_ci_u32_e32 v7, vcc_lo, 0, v8, vcc_lo
	s_delay_alu instid0(VALU_DEP_2) | instskip(SKIP_1) | instid1(VALU_DEP_2)
	v_add_co_u32 v4, vcc_lo, v4, v9
	s_wait_alu 0xfffd
	v_add_co_ci_u32_e32 v4, vcc_lo, v7, v10, vcc_lo
	s_wait_alu 0xfffd
	v_add_co_ci_u32_e32 v7, vcc_lo, 0, v12, vcc_lo
	s_delay_alu instid0(VALU_DEP_2) | instskip(SKIP_1) | instid1(VALU_DEP_2)
	v_add_co_u32 v4, vcc_lo, v4, v11
	s_wait_alu 0xfffd
	v_add_co_ci_u32_e32 v9, vcc_lo, 0, v7, vcc_lo
	s_delay_alu instid0(VALU_DEP_2) | instskip(SKIP_1) | instid1(VALU_DEP_3)
	v_mul_lo_u32 v10, s25, v4
	v_mad_co_u64_u32 v[7:8], null, s24, v4, 0
	v_mul_lo_u32 v11, s24, v9
	s_delay_alu instid0(VALU_DEP_2) | instskip(NEXT) | instid1(VALU_DEP_2)
	v_sub_co_u32 v7, vcc_lo, v5, v7
	v_add3_u32 v8, v8, v11, v10
	s_delay_alu instid0(VALU_DEP_1) | instskip(SKIP_1) | instid1(VALU_DEP_1)
	v_sub_nc_u32_e32 v10, v6, v8
	s_wait_alu 0xfffd
	v_subrev_co_ci_u32_e64 v10, s2, s25, v10, vcc_lo
	v_add_co_u32 v11, s2, v4, 2
	s_wait_alu 0xf1ff
	v_add_co_ci_u32_e64 v12, s2, 0, v9, s2
	v_sub_co_u32 v13, s2, v7, s24
	v_sub_co_ci_u32_e32 v8, vcc_lo, v6, v8, vcc_lo
	s_wait_alu 0xf1ff
	v_subrev_co_ci_u32_e64 v10, s2, 0, v10, s2
	s_delay_alu instid0(VALU_DEP_3) | instskip(NEXT) | instid1(VALU_DEP_3)
	v_cmp_le_u32_e32 vcc_lo, s24, v13
	v_cmp_eq_u32_e64 s2, s25, v8
	s_wait_alu 0xfffd
	v_cndmask_b32_e64 v13, 0, -1, vcc_lo
	v_cmp_le_u32_e32 vcc_lo, s25, v10
	s_wait_alu 0xfffd
	v_cndmask_b32_e64 v14, 0, -1, vcc_lo
	v_cmp_le_u32_e32 vcc_lo, s24, v7
	;; [unrolled: 3-line block ×3, first 2 shown]
	s_wait_alu 0xfffd
	v_cndmask_b32_e64 v15, 0, -1, vcc_lo
	v_cmp_eq_u32_e32 vcc_lo, s25, v10
	s_wait_alu 0xf1ff
	s_delay_alu instid0(VALU_DEP_2)
	v_cndmask_b32_e64 v7, v15, v7, s2
	s_wait_alu 0xfffd
	v_cndmask_b32_e32 v10, v14, v13, vcc_lo
	v_add_co_u32 v13, vcc_lo, v4, 1
	s_wait_alu 0xfffd
	v_add_co_ci_u32_e32 v14, vcc_lo, 0, v9, vcc_lo
	s_delay_alu instid0(VALU_DEP_3) | instskip(SKIP_1) | instid1(VALU_DEP_2)
	v_cmp_ne_u32_e32 vcc_lo, 0, v10
	s_wait_alu 0xfffd
	v_cndmask_b32_e32 v8, v14, v12, vcc_lo
	v_cndmask_b32_e32 v10, v13, v11, vcc_lo
	v_cmp_ne_u32_e32 vcc_lo, 0, v7
	s_wait_alu 0xfffd
	s_delay_alu instid0(VALU_DEP_2)
	v_dual_cndmask_b32 v47, v9, v8 :: v_dual_cndmask_b32 v46, v4, v10
.LBB0_4:                                ;   in Loop: Header=BB0_2 Depth=1
	s_wait_alu 0xfffe
	s_and_not1_saveexec_b32 s2, s26
	s_cbranch_execz .LBB0_6
; %bb.5:                                ;   in Loop: Header=BB0_2 Depth=1
	v_cvt_f32_u32_e32 v4, s24
	s_sub_co_i32 s26, 0, s24
	v_mov_b32_e32 v47, v3
	s_delay_alu instid0(VALU_DEP_2) | instskip(NEXT) | instid1(TRANS32_DEP_1)
	v_rcp_iflag_f32_e32 v4, v4
	v_mul_f32_e32 v4, 0x4f7ffffe, v4
	s_delay_alu instid0(VALU_DEP_1) | instskip(SKIP_1) | instid1(VALU_DEP_1)
	v_cvt_u32_f32_e32 v4, v4
	s_wait_alu 0xfffe
	v_mul_lo_u32 v7, s26, v4
	s_delay_alu instid0(VALU_DEP_1) | instskip(NEXT) | instid1(VALU_DEP_1)
	v_mul_hi_u32 v7, v4, v7
	v_add_nc_u32_e32 v4, v4, v7
	s_delay_alu instid0(VALU_DEP_1) | instskip(NEXT) | instid1(VALU_DEP_1)
	v_mul_hi_u32 v4, v5, v4
	v_mul_lo_u32 v7, v4, s24
	v_add_nc_u32_e32 v8, 1, v4
	s_delay_alu instid0(VALU_DEP_2) | instskip(NEXT) | instid1(VALU_DEP_1)
	v_sub_nc_u32_e32 v7, v5, v7
	v_subrev_nc_u32_e32 v9, s24, v7
	v_cmp_le_u32_e32 vcc_lo, s24, v7
	s_wait_alu 0xfffd
	s_delay_alu instid0(VALU_DEP_2) | instskip(NEXT) | instid1(VALU_DEP_1)
	v_dual_cndmask_b32 v7, v7, v9 :: v_dual_cndmask_b32 v4, v4, v8
	v_cmp_le_u32_e32 vcc_lo, s24, v7
	s_delay_alu instid0(VALU_DEP_2) | instskip(SKIP_1) | instid1(VALU_DEP_1)
	v_add_nc_u32_e32 v8, 1, v4
	s_wait_alu 0xfffd
	v_cndmask_b32_e32 v46, v4, v8, vcc_lo
.LBB0_6:                                ;   in Loop: Header=BB0_2 Depth=1
	s_wait_alu 0xfffe
	s_or_b32 exec_lo, exec_lo, s2
	v_mul_lo_u32 v4, v47, s24
	s_delay_alu instid0(VALU_DEP_2)
	v_mul_lo_u32 v9, v46, s25
	s_load_b64 s[26:27], s[18:19], 0x0
	v_mad_co_u64_u32 v[7:8], null, v46, s24, 0
	s_load_b64 s[24:25], s[16:17], 0x0
	s_add_nc_u64 s[20:21], s[20:21], 1
	s_add_nc_u64 s[16:17], s[16:17], 8
	s_wait_alu 0xfffe
	v_cmp_ge_u64_e64 s2, s[20:21], s[10:11]
	s_add_nc_u64 s[18:19], s[18:19], 8
	s_add_nc_u64 s[22:23], s[22:23], 8
	v_add3_u32 v4, v8, v9, v4
	v_sub_co_u32 v5, vcc_lo, v5, v7
	s_wait_alu 0xfffd
	s_delay_alu instid0(VALU_DEP_2) | instskip(SKIP_2) | instid1(VALU_DEP_1)
	v_sub_co_ci_u32_e32 v4, vcc_lo, v6, v4, vcc_lo
	s_and_b32 vcc_lo, exec_lo, s2
	s_wait_kmcnt 0x0
	v_mul_lo_u32 v6, s26, v4
	v_mul_lo_u32 v7, s27, v5
	v_mad_co_u64_u32 v[1:2], null, s26, v5, v[1:2]
	v_mul_lo_u32 v4, s24, v4
	v_mul_lo_u32 v8, s25, v5
	v_mad_co_u64_u32 v[44:45], null, s24, v5, v[44:45]
	s_delay_alu instid0(VALU_DEP_4) | instskip(NEXT) | instid1(VALU_DEP_2)
	v_add3_u32 v2, v7, v2, v6
	v_add3_u32 v45, v8, v45, v4
	s_wait_alu 0xfffe
	s_cbranch_vccnz .LBB0_9
; %bb.7:                                ;   in Loop: Header=BB0_2 Depth=1
	v_dual_mov_b32 v5, v46 :: v_dual_mov_b32 v6, v47
	s_branch .LBB0_2
.LBB0_8:
	v_dual_mov_b32 v45, v2 :: v_dual_mov_b32 v44, v1
	v_dual_mov_b32 v47, v6 :: v_dual_mov_b32 v46, v5
.LBB0_9:
	s_load_b64 s[0:1], s[0:1], 0x28
	v_mul_hi_u32 v3, 0x124924a, v0
	s_lshl_b64 s[10:11], s[10:11], 3
                                        ; implicit-def: $vgpr53
	s_wait_alu 0xfffe
	s_add_nc_u64 s[2:3], s[14:15], s[10:11]
                                        ; implicit-def: $sgpr14
	s_wait_kmcnt 0x0
	v_cmp_gt_u64_e32 vcc_lo, s[0:1], v[46:47]
	v_cmp_le_u64_e64 s0, s[0:1], v[46:47]
	s_delay_alu instid0(VALU_DEP_1)
	s_and_saveexec_b32 s1, s0
	s_wait_alu 0xfffe
	s_xor_b32 s0, exec_lo, s1
; %bb.10:
	v_mul_u32_u24_e32 v1, 0xe0, v3
	s_mov_b32 s14, 0
                                        ; implicit-def: $vgpr3
	s_delay_alu instid0(VALU_DEP_1)
	v_sub_nc_u32_e32 v53, v0, v1
                                        ; implicit-def: $vgpr0
                                        ; implicit-def: $vgpr1_vgpr2
; %bb.11:
	s_wait_alu 0xfffe
	s_or_saveexec_b32 s1, s0
	s_load_b64 s[2:3], s[2:3], 0x0
	v_mov_b32_e32 v48, s14
                                        ; implicit-def: $vgpr34_vgpr35
                                        ; implicit-def: $vgpr18_vgpr19
                                        ; implicit-def: $vgpr26_vgpr27
                                        ; implicit-def: $vgpr14_vgpr15
                                        ; implicit-def: $vgpr30_vgpr31
                                        ; implicit-def: $vgpr10_vgpr11
                                        ; implicit-def: $vgpr22_vgpr23
                                        ; implicit-def: $vgpr6_vgpr7
	s_xor_b32 exec_lo, exec_lo, s1
	s_cbranch_execz .LBB0_15
; %bb.12:
	s_add_nc_u64 s[10:11], s[12:13], s[10:11]
	v_lshlrev_b64_e32 v[1:2], 4, v[1:2]
	s_load_b64 s[10:11], s[10:11], 0x0
                                        ; implicit-def: $vgpr16_vgpr17
                                        ; implicit-def: $vgpr32_vgpr33
	s_wait_kmcnt 0x0
	v_mul_lo_u32 v6, s11, v46
	v_mul_lo_u32 v7, s10, v47
	v_mad_co_u64_u32 v[4:5], null, s10, v46, 0
	s_delay_alu instid0(VALU_DEP_1) | instskip(SKIP_1) | instid1(VALU_DEP_2)
	v_add3_u32 v5, v5, v7, v6
	v_mul_u32_u24_e32 v6, 0xe0, v3
	v_lshlrev_b64_e32 v[3:4], 4, v[4:5]
	s_delay_alu instid0(VALU_DEP_2) | instskip(NEXT) | instid1(VALU_DEP_2)
	v_sub_nc_u32_e32 v53, v0, v6
	v_add_co_u32 v0, s0, s4, v3
	s_wait_alu 0xf1ff
	s_delay_alu instid0(VALU_DEP_3) | instskip(NEXT) | instid1(VALU_DEP_3)
	v_add_co_ci_u32_e64 v3, s0, s5, v4, s0
	v_lshlrev_b32_e32 v4, 4, v53
	s_delay_alu instid0(VALU_DEP_3) | instskip(SKIP_1) | instid1(VALU_DEP_3)
	v_add_co_u32 v0, s0, v0, v1
	s_wait_alu 0xf1ff
	v_add_co_ci_u32_e64 v1, s0, v3, v2, s0
	s_mov_b32 s4, exec_lo
	s_delay_alu instid0(VALU_DEP_2) | instskip(SKIP_1) | instid1(VALU_DEP_2)
	v_add_co_u32 v0, s0, v0, v4
	s_wait_alu 0xf1ff
	v_add_co_ci_u32_e64 v1, s0, 0, v1, s0
	s_clause 0x5
	global_load_b128 v[4:7], v[0:1], off
	global_load_b128 v[8:11], v[0:1], off offset:3584
	global_load_b128 v[20:23], v[0:1], off offset:12544
	;; [unrolled: 1-line block ×5, first 2 shown]
	v_cmpx_gt_u32_e32 0x70, v53
; %bb.13:
	s_clause 0x1
	global_load_b128 v[16:19], v[0:1], off offset:10752
	global_load_b128 v[32:35], v[0:1], off offset:23296
; %bb.14:
	s_wait_alu 0xfffe
	s_or_b32 exec_lo, exec_lo, s4
	v_mov_b32_e32 v48, v53
.LBB0_15:
	s_or_b32 exec_lo, exec_lo, s1
	s_wait_loadcnt 0x3
	v_add_f64_e64 v[38:39], v[4:5], -v[20:21]
	s_wait_loadcnt 0x0
	v_add_f64_e64 v[2:3], v[16:17], -v[32:33]
	v_add_f64_e64 v[42:43], v[8:9], -v[28:29]
	;; [unrolled: 1-line block ×3, first 2 shown]
	v_add_nc_u32_e32 v25, 0xe0, v53
	v_add_nc_u32_e32 v28, 0x1c0, v53
	;; [unrolled: 1-line block ×3, first 2 shown]
	v_lshl_add_u32 v21, v53, 4, 0
	v_cmp_gt_u32_e64 s0, 0x70, v53
	v_lshl_add_u32 v20, v25, 4, 0
	v_fma_f64 v[36:37], v[4:5], 2.0, -v[38:39]
	v_fma_f64 v[0:1], v[16:17], 2.0, -v[2:3]
	;; [unrolled: 1-line block ×4, first 2 shown]
	v_lshl_add_u32 v17, v28, 4, 0
	v_lshl_add_u32 v16, v24, 4, 0
	ds_store_b128 v21, v[36:39]
	ds_store_b128 v20, v[40:43]
	;; [unrolled: 1-line block ×3, first 2 shown]
	s_and_saveexec_b32 s1, s0
	s_cbranch_execz .LBB0_17
; %bb.16:
	ds_store_b128 v16, v[0:3]
.LBB0_17:
	s_wait_alu 0xfffe
	s_or_b32 exec_lo, exec_lo, s1
	v_lshlrev_b32_e32 v4, 3, v53
	global_wb scope:SCOPE_SE
	s_wait_dscnt 0x0
	s_wait_kmcnt 0x0
	s_barrier_signal -1
	s_barrier_wait -1
	global_inv scope:SCOPE_SE
	v_sub_nc_u32_e32 v54, v21, v4
	s_delay_alu instid0(VALU_DEP_1)
	v_add_nc_u32_e32 v4, 0x1800, v54
	ds_load_2addr_b64 v[40:43], v54 offset1:224
	ds_load_2addr_b64 v[36:39], v4 offset0:16 offset1:240
	ds_load_b64 v[12:13], v54 offset:3584
	ds_load_b64 v[4:5], v54 offset:9856
	s_and_saveexec_b32 s1, s0
	s_cbranch_execz .LBB0_19
; %bb.18:
	ds_load_b64 v[0:1], v54 offset:5376
	ds_load_b64 v[2:3], v54 offset:11648
.LBB0_19:
	s_wait_alu 0xfffe
	s_or_b32 exec_lo, exec_lo, s1
	v_add_f64_e64 v[32:33], v[6:7], -v[22:23]
	v_add_f64_e64 v[8:9], v[18:19], -v[34:35]
	v_add_f64_e64 v[51:52], v[10:11], -v[30:31]
	v_add_f64_e64 v[57:58], v[14:15], -v[26:27]
	global_wb scope:SCOPE_SE
	s_wait_dscnt 0x0
	s_barrier_signal -1
	s_barrier_wait -1
	global_inv scope:SCOPE_SE
	v_fma_f64 v[30:31], v[6:7], 2.0, -v[32:33]
	v_fma_f64 v[6:7], v[18:19], 2.0, -v[8:9]
	;; [unrolled: 1-line block ×4, first 2 shown]
	ds_store_b128 v21, v[30:33]
	ds_store_b128 v20, v[49:52]
	;; [unrolled: 1-line block ×3, first 2 shown]
	s_and_saveexec_b32 s1, s0
	s_cbranch_execz .LBB0_21
; %bb.20:
	ds_store_b128 v16, v[6:9]
.LBB0_21:
	s_wait_alu 0xfffe
	s_or_b32 exec_lo, exec_lo, s1
	v_add_nc_u32_e32 v10, 0x1800, v54
	global_wb scope:SCOPE_SE
	s_wait_dscnt 0x0
	s_barrier_signal -1
	s_barrier_wait -1
	global_inv scope:SCOPE_SE
	ds_load_2addr_b64 v[14:17], v54 offset1:224
	ds_load_2addr_b64 v[18:21], v10 offset0:16 offset1:240
	ds_load_b64 v[32:33], v54 offset:3584
	ds_load_b64 v[49:50], v54 offset:9856
	v_lshlrev_b32_e32 v59, 1, v53
	v_lshlrev_b32_e32 v58, 1, v25
	;; [unrolled: 1-line block ×3, first 2 shown]
	s_and_saveexec_b32 s1, s0
	s_cbranch_execz .LBB0_23
; %bb.22:
	ds_load_b64 v[6:7], v54 offset:5376
	ds_load_b64 v[8:9], v54 offset:11648
.LBB0_23:
	s_wait_alu 0xfffe
	s_or_b32 exec_lo, exec_lo, s1
	v_and_b32_e32 v55, 1, v53
	v_lshlrev_b32_e32 v56, 1, v24
	s_delay_alu instid0(VALU_DEP_2)
	v_lshlrev_b32_e32 v10, 4, v55
	v_and_or_b32 v24, 0x1fc, v59, v55
	v_and_or_b32 v25, 0x3fc, v58, v55
	;; [unrolled: 1-line block ×3, first 2 shown]
	global_load_b128 v[26:29], v10, s[8:9]
	global_wb scope:SCOPE_SE
	s_wait_loadcnt_dscnt 0x0
	s_barrier_signal -1
	v_lshl_add_u32 v60, v60, 3, 0
	s_barrier_wait -1
	global_inv scope:SCOPE_SE
	v_mul_f64_e32 v[10:11], v[18:19], v[28:29]
	v_mul_f64_e32 v[30:31], v[49:50], v[28:29]
	;; [unrolled: 1-line block ×4, first 2 shown]
	s_delay_alu instid0(VALU_DEP_4) | instskip(NEXT) | instid1(VALU_DEP_4)
	v_fma_f64 v[10:11], v[36:37], v[26:27], v[10:11]
	v_fma_f64 v[30:31], v[4:5], v[26:27], v[30:31]
	s_delay_alu instid0(VALU_DEP_4) | instskip(NEXT) | instid1(VALU_DEP_4)
	v_fma_f64 v[34:35], v[2:3], v[26:27], v[34:35]
	v_fma_f64 v[22:23], v[38:39], v[26:27], v[22:23]
	s_delay_alu instid0(VALU_DEP_4) | instskip(NEXT) | instid1(VALU_DEP_4)
	v_add_f64_e64 v[10:11], v[40:41], -v[10:11]
	v_add_f64_e64 v[51:52], v[12:13], -v[30:31]
	s_delay_alu instid0(VALU_DEP_4) | instskip(NEXT) | instid1(VALU_DEP_4)
	v_add_f64_e64 v[30:31], v[0:1], -v[34:35]
	v_add_f64_e64 v[22:23], v[42:43], -v[22:23]
	s_delay_alu instid0(VALU_DEP_4) | instskip(NEXT) | instid1(VALU_DEP_4)
	v_fma_f64 v[34:35], v[40:41], 2.0, -v[10:11]
	v_fma_f64 v[12:13], v[12:13], 2.0, -v[51:52]
	s_delay_alu instid0(VALU_DEP_4) | instskip(NEXT) | instid1(VALU_DEP_4)
	v_fma_f64 v[0:1], v[0:1], 2.0, -v[30:31]
	v_fma_f64 v[40:41], v[42:43], 2.0, -v[22:23]
	v_lshl_add_u32 v42, v24, 3, 0
	v_lshl_add_u32 v43, v25, 3, 0
	ds_store_2addr_b64 v42, v[34:35], v[10:11] offset1:2
	ds_store_2addr_b64 v43, v[40:41], v[22:23] offset1:2
	ds_store_2addr_b64 v60, v[12:13], v[51:52] offset1:2
	s_and_saveexec_b32 s1, s0
	s_cbranch_execz .LBB0_25
; %bb.24:
	v_and_or_b32 v10, 0x7fc, v56, v55
	s_delay_alu instid0(VALU_DEP_1)
	v_lshl_add_u32 v10, v10, 3, 0
	ds_store_2addr_b64 v10, v[0:1], v[30:31] offset1:2
.LBB0_25:
	s_wait_alu 0xfffe
	s_or_b32 exec_lo, exec_lo, s1
	v_add_nc_u32_e32 v10, 0x1800, v54
	global_wb scope:SCOPE_SE
	s_wait_dscnt 0x0
	s_barrier_signal -1
	s_barrier_wait -1
	global_inv scope:SCOPE_SE
	ds_load_2addr_b64 v[22:25], v54 offset1:224
	ds_load_2addr_b64 v[10:13], v10 offset0:16 offset1:240
	ds_load_b64 v[51:52], v54 offset:3584
	ds_load_b64 v[34:35], v54 offset:9856
	s_and_saveexec_b32 s1, s0
	s_cbranch_execz .LBB0_27
; %bb.26:
	ds_load_b64 v[0:1], v54 offset:5376
	ds_load_b64 v[30:31], v54 offset:11648
.LBB0_27:
	s_wait_alu 0xfffe
	s_or_b32 exec_lo, exec_lo, s1
	v_mul_f64_e32 v[36:37], v[36:37], v[28:29]
	v_mul_f64_e32 v[2:3], v[2:3], v[28:29]
	;; [unrolled: 1-line block ×4, first 2 shown]
	global_wb scope:SCOPE_SE
	s_wait_dscnt 0x0
	s_barrier_signal -1
	s_barrier_wait -1
	global_inv scope:SCOPE_SE
	v_fma_f64 v[18:19], v[18:19], v[26:27], -v[36:37]
	v_fma_f64 v[2:3], v[8:9], v[26:27], -v[2:3]
	;; [unrolled: 1-line block ×4, first 2 shown]
	s_delay_alu instid0(VALU_DEP_4) | instskip(NEXT) | instid1(VALU_DEP_4)
	v_add_f64_e64 v[18:19], v[14:15], -v[18:19]
	v_add_f64_e64 v[40:41], v[6:7], -v[2:3]
	s_delay_alu instid0(VALU_DEP_4) | instskip(NEXT) | instid1(VALU_DEP_4)
	v_add_f64_e64 v[20:21], v[16:17], -v[20:21]
	v_add_f64_e64 v[4:5], v[32:33], -v[4:5]
	s_delay_alu instid0(VALU_DEP_4) | instskip(NEXT) | instid1(VALU_DEP_4)
	v_fma_f64 v[2:3], v[14:15], 2.0, -v[18:19]
	v_fma_f64 v[8:9], v[6:7], 2.0, -v[40:41]
	s_delay_alu instid0(VALU_DEP_4) | instskip(NEXT) | instid1(VALU_DEP_4)
	v_fma_f64 v[14:15], v[16:17], 2.0, -v[20:21]
	v_fma_f64 v[16:17], v[32:33], 2.0, -v[4:5]
	ds_store_2addr_b64 v42, v[2:3], v[18:19] offset1:2
	ds_store_2addr_b64 v43, v[14:15], v[20:21] offset1:2
	;; [unrolled: 1-line block ×3, first 2 shown]
	s_and_saveexec_b32 s1, s0
	s_cbranch_execz .LBB0_29
; %bb.28:
	v_and_or_b32 v2, 0x7fc, v56, v55
	s_delay_alu instid0(VALU_DEP_1)
	v_lshl_add_u32 v2, v2, 3, 0
	ds_store_2addr_b64 v2, v[8:9], v[40:41] offset1:2
.LBB0_29:
	s_wait_alu 0xfffe
	s_or_b32 exec_lo, exec_lo, s1
	v_add_nc_u32_e32 v2, 0x1800, v54
	global_wb scope:SCOPE_SE
	s_wait_dscnt 0x0
	s_barrier_signal -1
	s_barrier_wait -1
	global_inv scope:SCOPE_SE
	ds_load_2addr_b64 v[4:7], v54 offset1:224
	ds_load_2addr_b64 v[14:17], v2 offset0:16 offset1:240
	ds_load_b64 v[42:43], v54 offset:3584
	ds_load_b64 v[49:50], v54 offset:9856
	s_and_saveexec_b32 s1, s0
	s_cbranch_execz .LBB0_31
; %bb.30:
	ds_load_b64 v[8:9], v54 offset:5376
	ds_load_b64 v[40:41], v54 offset:11648
.LBB0_31:
	s_wait_alu 0xfffe
	s_or_b32 exec_lo, exec_lo, s1
	v_and_b32_e32 v60, 3, v53
	s_delay_alu instid0(VALU_DEP_1)
	v_lshlrev_b32_e32 v2, 4, v60
	global_load_b128 v[26:29], v2, s[8:9] offset:32
	global_wb scope:SCOPE_SE
	s_wait_loadcnt_dscnt 0x0
	s_barrier_signal -1
	s_barrier_wait -1
	global_inv scope:SCOPE_SE
	v_mul_f64_e32 v[2:3], v[14:15], v[28:29]
	v_mul_f64_e32 v[32:33], v[40:41], v[28:29]
	;; [unrolled: 1-line block ×4, first 2 shown]
	s_delay_alu instid0(VALU_DEP_4) | instskip(NEXT) | instid1(VALU_DEP_4)
	v_fma_f64 v[2:3], v[10:11], v[26:27], v[2:3]
	v_fma_f64 v[32:33], v[30:31], v[26:27], v[32:33]
	s_delay_alu instid0(VALU_DEP_4) | instskip(NEXT) | instid1(VALU_DEP_4)
	v_fma_f64 v[18:19], v[12:13], v[26:27], v[18:19]
	v_fma_f64 v[20:21], v[34:35], v[26:27], v[20:21]
	s_delay_alu instid0(VALU_DEP_4) | instskip(NEXT) | instid1(VALU_DEP_4)
	v_add_f64_e64 v[2:3], v[22:23], -v[2:3]
	v_add_f64_e64 v[32:33], v[0:1], -v[32:33]
	s_delay_alu instid0(VALU_DEP_4) | instskip(NEXT) | instid1(VALU_DEP_4)
	v_add_f64_e64 v[18:19], v[24:25], -v[18:19]
	v_add_f64_e64 v[20:21], v[51:52], -v[20:21]
	s_delay_alu instid0(VALU_DEP_4) | instskip(NEXT) | instid1(VALU_DEP_4)
	v_fma_f64 v[36:37], v[22:23], 2.0, -v[2:3]
	v_fma_f64 v[38:39], v[0:1], 2.0, -v[32:33]
	s_delay_alu instid0(VALU_DEP_4) | instskip(NEXT) | instid1(VALU_DEP_4)
	v_fma_f64 v[61:62], v[24:25], 2.0, -v[18:19]
	v_fma_f64 v[51:52], v[51:52], 2.0, -v[20:21]
	v_and_or_b32 v0, 0x1f8, v59, v60
	v_and_or_b32 v1, 0x3f8, v58, v60
	v_and_or_b32 v24, 0x7f8, v57, v60
	s_delay_alu instid0(VALU_DEP_3) | instskip(NEXT) | instid1(VALU_DEP_3)
	v_lshl_add_u32 v22, v0, 3, 0
	v_lshl_add_u32 v23, v1, 3, 0
	s_delay_alu instid0(VALU_DEP_3)
	v_lshl_add_u32 v24, v24, 3, 0
	ds_store_2addr_b64 v22, v[36:37], v[2:3] offset1:4
	ds_store_2addr_b64 v23, v[61:62], v[18:19] offset1:4
	;; [unrolled: 1-line block ×3, first 2 shown]
	s_and_saveexec_b32 s1, s0
	s_cbranch_execz .LBB0_33
; %bb.32:
	v_and_or_b32 v0, 0x7f8, v56, v60
	s_delay_alu instid0(VALU_DEP_1)
	v_lshl_add_u32 v0, v0, 3, 0
	ds_store_2addr_b64 v0, v[38:39], v[32:33] offset1:4
.LBB0_33:
	s_wait_alu 0xfffe
	s_or_b32 exec_lo, exec_lo, s1
	v_add_nc_u32_e32 v0, 0x1800, v54
	global_wb scope:SCOPE_SE
	s_wait_dscnt 0x0
	s_barrier_signal -1
	s_barrier_wait -1
	global_inv scope:SCOPE_SE
	ds_load_2addr_b64 v[18:21], v54 offset1:224
	ds_load_2addr_b64 v[0:3], v0 offset0:16 offset1:240
	ds_load_b64 v[51:52], v54 offset:3584
	ds_load_b64 v[36:37], v54 offset:9856
	v_lshl_add_u32 v55, v53, 3, 0
	s_and_saveexec_b32 s1, s0
	s_cbranch_execz .LBB0_35
; %bb.34:
	ds_load_b64 v[38:39], v55 offset:5376
	ds_load_b64 v[32:33], v54 offset:11648
.LBB0_35:
	s_wait_alu 0xfffe
	s_or_b32 exec_lo, exec_lo, s1
	v_mul_f64_e32 v[10:11], v[10:11], v[28:29]
	v_mul_f64_e32 v[12:13], v[12:13], v[28:29]
	;; [unrolled: 1-line block ×4, first 2 shown]
	global_wb scope:SCOPE_SE
	s_wait_dscnt 0x0
	s_barrier_signal -1
	s_barrier_wait -1
	global_inv scope:SCOPE_SE
	v_fma_f64 v[10:11], v[14:15], v[26:27], -v[10:11]
	v_fma_f64 v[12:13], v[16:17], v[26:27], -v[12:13]
	;; [unrolled: 1-line block ×4, first 2 shown]
	s_delay_alu instid0(VALU_DEP_4) | instskip(NEXT) | instid1(VALU_DEP_4)
	v_add_f64_e64 v[10:11], v[4:5], -v[10:11]
	v_add_f64_e64 v[12:13], v[6:7], -v[12:13]
	s_delay_alu instid0(VALU_DEP_4) | instskip(NEXT) | instid1(VALU_DEP_4)
	v_add_f64_e64 v[14:15], v[42:43], -v[14:15]
	v_add_f64_e64 v[34:35], v[8:9], -v[16:17]
	s_delay_alu instid0(VALU_DEP_4) | instskip(NEXT) | instid1(VALU_DEP_4)
	v_fma_f64 v[4:5], v[4:5], 2.0, -v[10:11]
	v_fma_f64 v[6:7], v[6:7], 2.0, -v[12:13]
	s_delay_alu instid0(VALU_DEP_4) | instskip(NEXT) | instid1(VALU_DEP_4)
	v_fma_f64 v[16:17], v[42:43], 2.0, -v[14:15]
	v_fma_f64 v[28:29], v[8:9], 2.0, -v[34:35]
	ds_store_2addr_b64 v22, v[4:5], v[10:11] offset1:4
	ds_store_2addr_b64 v23, v[6:7], v[12:13] offset1:4
	;; [unrolled: 1-line block ×3, first 2 shown]
	s_and_saveexec_b32 s1, s0
	s_cbranch_execz .LBB0_37
; %bb.36:
	v_and_or_b32 v4, 0x7f8, v56, v60
	s_delay_alu instid0(VALU_DEP_1)
	v_lshl_add_u32 v4, v4, 3, 0
	ds_store_2addr_b64 v4, v[28:29], v[34:35] offset1:4
.LBB0_37:
	s_wait_alu 0xfffe
	s_or_b32 exec_lo, exec_lo, s1
	v_add_nc_u32_e32 v4, 0x1800, v54
	global_wb scope:SCOPE_SE
	s_wait_dscnt 0x0
	s_barrier_signal -1
	s_barrier_wait -1
	global_inv scope:SCOPE_SE
	ds_load_2addr_b64 v[8:11], v54 offset1:224
	ds_load_2addr_b64 v[12:15], v4 offset0:16 offset1:240
	ds_load_b64 v[40:41], v54 offset:3584
	ds_load_b64 v[42:43], v54 offset:9856
	s_and_saveexec_b32 s1, s0
	s_cbranch_execz .LBB0_39
; %bb.38:
	ds_load_b64 v[28:29], v55 offset:5376
	ds_load_b64 v[34:35], v54 offset:11648
.LBB0_39:
	s_wait_alu 0xfffe
	s_or_b32 exec_lo, exec_lo, s1
	v_and_b32_e32 v49, 7, v53
	s_delay_alu instid0(VALU_DEP_1)
	v_lshlrev_b32_e32 v4, 4, v49
	global_load_b128 v[22:25], v4, s[8:9] offset:96
	global_wb scope:SCOPE_SE
	s_wait_loadcnt_dscnt 0x0
	s_barrier_signal -1
	s_barrier_wait -1
	global_inv scope:SCOPE_SE
	v_mul_f64_e32 v[4:5], v[12:13], v[24:25]
	v_mul_f64_e32 v[6:7], v[14:15], v[24:25]
	;; [unrolled: 1-line block ×4, first 2 shown]
	s_delay_alu instid0(VALU_DEP_4) | instskip(NEXT) | instid1(VALU_DEP_4)
	v_fma_f64 v[4:5], v[0:1], v[22:23], v[4:5]
	v_fma_f64 v[6:7], v[2:3], v[22:23], v[6:7]
	s_delay_alu instid0(VALU_DEP_4) | instskip(NEXT) | instid1(VALU_DEP_4)
	v_fma_f64 v[26:27], v[32:33], v[22:23], v[26:27]
	v_fma_f64 v[16:17], v[36:37], v[22:23], v[16:17]
	s_delay_alu instid0(VALU_DEP_4) | instskip(NEXT) | instid1(VALU_DEP_4)
	v_add_f64_e64 v[4:5], v[18:19], -v[4:5]
	v_add_f64_e64 v[6:7], v[20:21], -v[6:7]
	s_delay_alu instid0(VALU_DEP_4) | instskip(NEXT) | instid1(VALU_DEP_4)
	v_add_f64_e64 v[26:27], v[38:39], -v[26:27]
	v_add_f64_e64 v[16:17], v[51:52], -v[16:17]
	s_delay_alu instid0(VALU_DEP_4) | instskip(NEXT) | instid1(VALU_DEP_4)
	v_fma_f64 v[18:19], v[18:19], 2.0, -v[4:5]
	v_fma_f64 v[30:31], v[20:21], 2.0, -v[6:7]
	s_delay_alu instid0(VALU_DEP_4) | instskip(NEXT) | instid1(VALU_DEP_4)
	v_fma_f64 v[20:21], v[38:39], 2.0, -v[26:27]
	v_fma_f64 v[60:61], v[51:52], 2.0, -v[16:17]
	v_and_or_b32 v38, 0x1f0, v59, v49
	v_and_or_b32 v39, 0x3f0, v58, v49
	;; [unrolled: 1-line block ×3, first 2 shown]
	s_delay_alu instid0(VALU_DEP_3) | instskip(NEXT) | instid1(VALU_DEP_3)
	v_lshl_add_u32 v50, v38, 3, 0
	v_lshl_add_u32 v51, v39, 3, 0
	s_delay_alu instid0(VALU_DEP_3)
	v_lshl_add_u32 v52, v52, 3, 0
	ds_store_2addr_b64 v50, v[18:19], v[4:5] offset1:8
	ds_store_2addr_b64 v51, v[30:31], v[6:7] offset1:8
	;; [unrolled: 1-line block ×3, first 2 shown]
	s_and_saveexec_b32 s1, s0
	s_cbranch_execz .LBB0_41
; %bb.40:
	v_and_or_b32 v4, 0x7f0, v56, v49
	s_delay_alu instid0(VALU_DEP_1)
	v_lshl_add_u32 v4, v4, 3, 0
	ds_store_2addr_b64 v4, v[20:21], v[26:27] offset1:8
.LBB0_41:
	s_wait_alu 0xfffe
	s_or_b32 exec_lo, exec_lo, s1
	v_add_nc_u32_e32 v4, 0x1800, v54
	global_wb scope:SCOPE_SE
	s_wait_dscnt 0x0
	s_barrier_signal -1
	s_barrier_wait -1
	global_inv scope:SCOPE_SE
	ds_load_2addr_b64 v[16:19], v54 offset1:224
	ds_load_2addr_b64 v[4:7], v4 offset0:16 offset1:240
	ds_load_b64 v[38:39], v54 offset:3584
	ds_load_b64 v[30:31], v54 offset:9856
	s_and_saveexec_b32 s1, s0
	s_cbranch_execz .LBB0_43
; %bb.42:
	ds_load_b64 v[20:21], v55 offset:5376
	ds_load_b64 v[26:27], v54 offset:11648
.LBB0_43:
	s_wait_alu 0xfffe
	s_or_b32 exec_lo, exec_lo, s1
	v_mul_f64_e32 v[0:1], v[0:1], v[24:25]
	v_mul_f64_e32 v[2:3], v[2:3], v[24:25]
	v_mul_f64_e32 v[36:37], v[36:37], v[24:25]
	v_mul_f64_e32 v[24:25], v[32:33], v[24:25]
	global_wb scope:SCOPE_SE
	s_wait_dscnt 0x0
	s_barrier_signal -1
	s_barrier_wait -1
	global_inv scope:SCOPE_SE
	v_fma_f64 v[0:1], v[12:13], v[22:23], -v[0:1]
	v_fma_f64 v[2:3], v[14:15], v[22:23], -v[2:3]
	;; [unrolled: 1-line block ×4, first 2 shown]
	s_delay_alu instid0(VALU_DEP_4) | instskip(NEXT) | instid1(VALU_DEP_4)
	v_add_f64_e64 v[0:1], v[8:9], -v[0:1]
	v_add_f64_e64 v[2:3], v[10:11], -v[2:3]
	s_delay_alu instid0(VALU_DEP_4) | instskip(NEXT) | instid1(VALU_DEP_4)
	v_add_f64_e64 v[12:13], v[40:41], -v[12:13]
	v_add_f64_e64 v[22:23], v[28:29], -v[14:15]
	s_delay_alu instid0(VALU_DEP_4) | instskip(NEXT) | instid1(VALU_DEP_4)
	v_fma_f64 v[8:9], v[8:9], 2.0, -v[0:1]
	v_fma_f64 v[10:11], v[10:11], 2.0, -v[2:3]
	s_delay_alu instid0(VALU_DEP_4) | instskip(NEXT) | instid1(VALU_DEP_4)
	v_fma_f64 v[14:15], v[40:41], 2.0, -v[12:13]
	v_fma_f64 v[24:25], v[28:29], 2.0, -v[22:23]
	ds_store_2addr_b64 v50, v[8:9], v[0:1] offset1:8
	ds_store_2addr_b64 v51, v[10:11], v[2:3] offset1:8
	;; [unrolled: 1-line block ×3, first 2 shown]
	s_and_saveexec_b32 s1, s0
	s_cbranch_execz .LBB0_45
; %bb.44:
	v_and_or_b32 v0, 0x7f0, v56, v49
	s_delay_alu instid0(VALU_DEP_1)
	v_lshl_add_u32 v0, v0, 3, 0
	ds_store_2addr_b64 v0, v[24:25], v[22:23] offset1:8
.LBB0_45:
	s_wait_alu 0xfffe
	s_or_b32 exec_lo, exec_lo, s1
	v_add_nc_u32_e32 v8, 0x1800, v54
	global_wb scope:SCOPE_SE
	s_wait_dscnt 0x0
	s_barrier_signal -1
	s_barrier_wait -1
	global_inv scope:SCOPE_SE
	ds_load_2addr_b64 v[0:3], v54 offset1:224
	ds_load_2addr_b64 v[8:11], v8 offset0:16 offset1:240
	ds_load_b64 v[28:29], v54 offset:3584
	ds_load_b64 v[32:33], v54 offset:9856
	s_and_saveexec_b32 s1, s0
	s_cbranch_execz .LBB0_47
; %bb.46:
	ds_load_b64 v[24:25], v55 offset:5376
	ds_load_b64 v[22:23], v54 offset:11648
.LBB0_47:
	s_wait_alu 0xfffe
	s_or_b32 exec_lo, exec_lo, s1
	v_and_b32_e32 v34, 15, v53
	s_delay_alu instid0(VALU_DEP_1)
	v_lshlrev_b32_e32 v12, 4, v34
	global_load_b128 v[12:15], v12, s[8:9] offset:224
	global_wb scope:SCOPE_SE
	s_wait_loadcnt_dscnt 0x0
	s_barrier_signal -1
	s_barrier_wait -1
	global_inv scope:SCOPE_SE
	v_mul_f64_e32 v[35:36], v[8:9], v[14:15]
	v_mul_f64_e32 v[40:41], v[10:11], v[14:15]
	;; [unrolled: 1-line block ×3, first 2 shown]
	s_delay_alu instid0(VALU_DEP_3) | instskip(NEXT) | instid1(VALU_DEP_3)
	v_fma_f64 v[35:36], v[4:5], v[12:13], v[35:36]
	v_fma_f64 v[40:41], v[6:7], v[12:13], v[40:41]
	s_delay_alu instid0(VALU_DEP_3) | instskip(NEXT) | instid1(VALU_DEP_3)
	v_fma_f64 v[42:43], v[30:31], v[12:13], v[42:43]
	v_add_f64_e64 v[49:50], v[16:17], -v[35:36]
	s_delay_alu instid0(VALU_DEP_3) | instskip(NEXT) | instid1(VALU_DEP_3)
	v_add_f64_e64 v[40:41], v[18:19], -v[40:41]
	v_add_f64_e64 v[42:43], v[38:39], -v[42:43]
	v_and_or_b32 v35, 0x3e0, v58, v34
	v_and_or_b32 v36, 0x7e0, v57, v34
	s_delay_alu instid0(VALU_DEP_2) | instskip(NEXT) | instid1(VALU_DEP_2)
	v_lshl_add_u32 v35, v35, 3, 0
	v_lshl_add_u32 v36, v36, 3, 0
	v_fma_f64 v[16:17], v[16:17], 2.0, -v[49:50]
	v_fma_f64 v[51:52], v[18:19], 2.0, -v[40:41]
	;; [unrolled: 1-line block ×3, first 2 shown]
	v_and_or_b32 v18, 0x1e0, v59, v34
	s_delay_alu instid0(VALU_DEP_1)
	v_lshl_add_u32 v19, v18, 3, 0
	ds_store_2addr_b64 v19, v[16:17], v[49:50] offset1:16
	ds_store_2addr_b64 v35, v[51:52], v[40:41] offset1:16
	ds_store_2addr_b64 v36, v[37:38], v[42:43] offset1:16
	s_and_saveexec_b32 s1, s0
	s_cbranch_execz .LBB0_49
; %bb.48:
	v_mul_f64_e32 v[16:17], v[22:23], v[14:15]
	v_and_or_b32 v18, 0x7e0, v56, v34
	s_delay_alu instid0(VALU_DEP_1) | instskip(NEXT) | instid1(VALU_DEP_3)
	v_lshl_add_u32 v18, v18, 3, 0
	v_fma_f64 v[16:17], v[26:27], v[12:13], v[16:17]
	s_delay_alu instid0(VALU_DEP_1) | instskip(NEXT) | instid1(VALU_DEP_1)
	v_add_f64_e64 v[16:17], v[20:21], -v[16:17]
	v_fma_f64 v[20:21], v[20:21], 2.0, -v[16:17]
	ds_store_2addr_b64 v18, v[20:21], v[16:17] offset1:16
.LBB0_49:
	s_wait_alu 0xfffe
	s_or_b32 exec_lo, exec_lo, s1
	v_mul_f64_e32 v[4:5], v[4:5], v[14:15]
	v_mul_f64_e32 v[6:7], v[6:7], v[14:15]
	;; [unrolled: 1-line block ×3, first 2 shown]
	v_add_nc_u32_e32 v18, 0x2300, v54
	global_wb scope:SCOPE_SE
	s_wait_dscnt 0x0
	s_barrier_signal -1
	s_barrier_wait -1
	global_inv scope:SCOPE_SE
	v_fma_f64 v[4:5], v[8:9], v[12:13], -v[4:5]
	v_fma_f64 v[6:7], v[10:11], v[12:13], -v[6:7]
	;; [unrolled: 1-line block ×3, first 2 shown]
	s_delay_alu instid0(VALU_DEP_3) | instskip(NEXT) | instid1(VALU_DEP_3)
	v_add_f64_e64 v[20:21], v[0:1], -v[4:5]
	v_add_f64_e64 v[30:31], v[2:3], -v[6:7]
	s_delay_alu instid0(VALU_DEP_3) | instskip(NEXT) | instid1(VALU_DEP_3)
	v_add_f64_e64 v[32:33], v[28:29], -v[8:9]
	v_fma_f64 v[37:38], v[0:1], 2.0, -v[20:21]
	s_delay_alu instid0(VALU_DEP_3) | instskip(NEXT) | instid1(VALU_DEP_3)
	v_fma_f64 v[39:40], v[2:3], 2.0, -v[30:31]
	v_fma_f64 v[28:29], v[28:29], 2.0, -v[32:33]
	ds_load_2addr_b64 v[0:3], v54 offset1:224
	ds_load_2addr_stride64_b64 v[4:7], v54 offset0:7 offset1:14
	ds_load_b64 v[16:17], v55 offset:5376
	ds_load_2addr_b64 v[8:11], v18 offset1:224
	global_wb scope:SCOPE_SE
	s_wait_dscnt 0x0
	s_barrier_signal -1
	s_barrier_wait -1
	global_inv scope:SCOPE_SE
	ds_store_2addr_b64 v19, v[37:38], v[20:21] offset1:16
	ds_store_2addr_b64 v35, v[39:40], v[30:31] offset1:16
	;; [unrolled: 1-line block ×3, first 2 shown]
	s_and_saveexec_b32 s1, s0
	s_cbranch_execz .LBB0_51
; %bb.50:
	v_mul_f64_e32 v[14:15], v[26:27], v[14:15]
	v_and_or_b32 v19, 0x7e0, v56, v34
	s_delay_alu instid0(VALU_DEP_1) | instskip(NEXT) | instid1(VALU_DEP_3)
	v_lshl_add_u32 v19, v19, 3, 0
	v_fma_f64 v[12:13], v[22:23], v[12:13], -v[14:15]
	s_delay_alu instid0(VALU_DEP_1) | instskip(NEXT) | instid1(VALU_DEP_1)
	v_add_f64_e64 v[12:13], v[24:25], -v[12:13]
	v_fma_f64 v[14:15], v[24:25], 2.0, -v[12:13]
	ds_store_2addr_b64 v19, v[14:15], v[12:13] offset1:16
.LBB0_51:
	s_wait_alu 0xfffe
	s_or_b32 exec_lo, exec_lo, s1
	v_and_b32_e32 v43, 31, v53
	global_wb scope:SCOPE_SE
	s_wait_dscnt 0x0
	s_barrier_signal -1
	s_barrier_wait -1
	global_inv scope:SCOPE_SE
	v_mul_u32_u24_e32 v12, 6, v43
	s_mov_b32 s4, 0x37e14327
	s_mov_b32 s12, 0xe976ee23
	;; [unrolled: 1-line block ×4, first 2 shown]
	v_lshlrev_b32_e32 v35, 4, v12
	s_mov_b32 s0, 0x429ad128
	s_mov_b32 s14, 0x36b3c0b5
	;; [unrolled: 1-line block ×4, first 2 shown]
	s_clause 0x5
	global_load_b128 v[12:15], v35, s[8:9] offset:480
	global_load_b128 v[19:22], v35, s[8:9] offset:496
	;; [unrolled: 1-line block ×6, first 2 shown]
	ds_load_2addr_b64 v[39:42], v54 offset1:224
	ds_load_2addr_stride64_b64 v[49:52], v54 offset0:7 offset1:14
	ds_load_2addr_b64 v[56:59], v18 offset1:224
	ds_load_b64 v[68:69], v55 offset:5376
	s_mov_b32 s10, 0xaaaaaaaa
	s_mov_b32 s20, 0xb247c609
	;; [unrolled: 1-line block ×9, first 2 shown]
	s_wait_alu 0xfffe
	s_mov_b32 s22, s20
	s_mov_b32 s24, 0x37c3f68c
	;; [unrolled: 1-line block ×3, first 2 shown]
	global_wb scope:SCOPE_SE
	s_wait_loadcnt_dscnt 0x0
	s_barrier_signal -1
	s_barrier_wait -1
	global_inv scope:SCOPE_SE
	v_mul_f64_e32 v[60:61], v[41:42], v[14:15]
	v_mul_f64_e32 v[62:63], v[49:50], v[21:22]
	;; [unrolled: 1-line block ×12, first 2 shown]
	v_fma_f64 v[2:3], v[2:3], v[12:13], v[60:61]
	v_fma_f64 v[4:5], v[4:5], v[19:20], v[62:63]
	;; [unrolled: 1-line block ×4, first 2 shown]
	v_fma_f64 v[12:13], v[41:42], v[12:13], -v[14:15]
	v_fma_f64 v[14:15], v[49:50], v[19:20], -v[21:22]
	;; [unrolled: 1-line block ×4, first 2 shown]
	v_fma_f64 v[16:17], v[16:17], v[31:32], v[70:71]
	v_fma_f64 v[23:24], v[68:69], v[31:32], -v[33:34]
	v_fma_f64 v[6:7], v[6:7], v[35:36], v[72:73]
	v_fma_f64 v[25:26], v[51:52], v[35:36], -v[37:38]
	v_add_f64_e32 v[27:28], v[2:3], v[10:11]
	v_add_f64_e32 v[29:30], v[4:5], v[8:9]
	v_add_f64_e64 v[4:5], v[4:5], -v[8:9]
	v_add_f64_e64 v[2:3], v[2:3], -v[10:11]
	v_add_f64_e32 v[31:32], v[12:13], v[19:20]
	v_add_f64_e32 v[33:34], v[14:15], v[21:22]
	v_add_f64_e64 v[14:15], v[14:15], -v[21:22]
	v_add_f64_e64 v[12:13], v[12:13], -v[19:20]
	v_add_f64_e32 v[21:22], v[16:17], v[6:7]
	v_add_f64_e64 v[35:36], v[25:26], -v[23:24]
	v_add_f64_e32 v[8:9], v[23:24], v[25:26]
	;; [unrolled: 2-line block ×4, first 2 shown]
	v_add_f64_e64 v[25:26], v[14:15], -v[12:13]
	v_add_f64_e64 v[16:17], v[27:28], -v[21:22]
	;; [unrolled: 1-line block ×5, first 2 shown]
	v_add_f64_e32 v[14:15], v[35:36], v[14:15]
	v_add_f64_e64 v[35:36], v[12:13], -v[35:36]
	v_add_f64_e64 v[27:28], v[29:30], -v[27:28]
	v_add_f64_e32 v[4:5], v[6:7], v[4:5]
	v_add_f64_e64 v[6:7], v[2:3], -v[6:7]
	v_add_f64_e64 v[31:32], v[33:34], -v[31:32]
	v_add_f64_e32 v[19:20], v[21:22], v[19:20]
	v_add_f64_e64 v[21:22], v[21:22], -v[29:30]
	v_add_f64_e32 v[10:11], v[8:9], v[10:11]
	v_add_f64_e64 v[8:9], v[8:9], -v[33:34]
	v_mul_f64_e32 v[51:52], s[0:1], v[25:26]
	v_mul_f64_e32 v[16:17], s[4:5], v[16:17]
	;; [unrolled: 1-line block ×6, first 2 shown]
	v_add_f64_e32 v[12:13], v[14:15], v[12:13]
	v_add_f64_e32 v[2:3], v[4:5], v[2:3]
	;; [unrolled: 1-line block ×3, first 2 shown]
	v_mul_f64_e32 v[29:30], s[14:15], v[21:22]
	v_add_f64_e32 v[39:40], v[39:40], v[10:11]
	v_mul_f64_e32 v[56:57], s[14:15], v[8:9]
	v_fma_f64 v[14:15], v[21:22], s[14:15], v[16:17]
	v_fma_f64 v[21:22], v[35:36], s[20:21], v[23:24]
	v_fma_f64 v[23:24], v[25:26], s[0:1], -v[23:24]
	v_fma_f64 v[25:26], v[35:36], s[22:23], -v[51:52]
	;; [unrolled: 1-line block ×3, first 2 shown]
	v_fma_f64 v[4:5], v[8:9], s[14:15], v[37:38]
	v_fma_f64 v[8:9], v[6:7], s[20:21], v[41:42]
	v_fma_f64 v[6:7], v[6:7], s[22:23], -v[33:34]
	v_fma_f64 v[33:34], v[31:32], s[18:19], -v[37:38]
	v_fma_f64 v[19:20], v[19:20], s[10:11], v[0:1]
	v_fma_f64 v[27:28], v[27:28], s[16:17], -v[29:30]
	v_fma_f64 v[29:30], v[49:50], s[0:1], -v[41:42]
	v_fma_f64 v[10:11], v[10:11], s[10:11], v[39:40]
	v_fma_f64 v[31:32], v[31:32], s[16:17], -v[56:57]
	s_wait_alu 0xfffe
	v_fma_f64 v[21:22], v[12:13], s[24:25], v[21:22]
	v_fma_f64 v[23:24], v[12:13], s[24:25], v[23:24]
	;; [unrolled: 1-line block ×4, first 2 shown]
	v_add_f64_e32 v[14:15], v[14:15], v[19:20]
	v_add_f64_e32 v[16:17], v[16:17], v[19:20]
	;; [unrolled: 1-line block ×3, first 2 shown]
	v_fma_f64 v[25:26], v[2:3], s[24:25], v[29:30]
	v_add_f64_e32 v[4:5], v[4:5], v[10:11]
	v_fma_f64 v[2:3], v[2:3], s[24:25], v[6:7]
	v_add_f64_e32 v[6:7], v[33:34], v[10:11]
	v_add_f64_e32 v[10:11], v[31:32], v[10:11]
	;; [unrolled: 1-line block ×4, first 2 shown]
	v_add_f64_e64 v[31:32], v[19:20], -v[23:24]
	v_add_f64_e32 v[19:20], v[23:24], v[19:20]
	v_add_f64_e64 v[12:13], v[16:17], -v[12:13]
	v_add_f64_e64 v[14:15], v[14:15], -v[21:22]
	v_lshrrev_b32_e32 v16, 5, v53
	v_add_f64_e64 v[21:22], v[6:7], -v[2:3]
	v_add_f64_e32 v[23:24], v[25:26], v[10:11]
	v_add_f64_e64 v[25:26], v[10:11], -v[25:26]
	v_add_f64_e32 v[33:34], v[2:3], v[6:7]
	v_mul_u32_u24_e32 v37, 0xe0, v16
	v_add_f64_e64 v[16:17], v[4:5], -v[8:9]
	v_add_f64_e32 v[35:36], v[8:9], v[4:5]
	s_delay_alu instid0(VALU_DEP_3) | instskip(NEXT) | instid1(VALU_DEP_1)
	v_or_b32_e32 v2, v37, v43
	v_lshl_add_u32 v37, v2, 3, 0
	ds_store_2addr_b64 v37, v[0:1], v[27:28] offset1:32
	ds_store_2addr_b64 v37, v[29:30], v[31:32] offset0:64 offset1:96
	ds_store_2addr_b64 v37, v[19:20], v[12:13] offset0:128 offset1:160
	ds_store_b64 v37, v[14:15] offset:1536
	global_wb scope:SCOPE_SE
	s_wait_dscnt 0x0
	s_barrier_signal -1
	s_barrier_wait -1
	global_inv scope:SCOPE_SE
	ds_load_2addr_b64 v[0:3], v54 offset1:224
	ds_load_2addr_stride64_b64 v[4:7], v54 offset0:7 offset1:14
	ds_load_b64 v[12:13], v55 offset:5376
	ds_load_2addr_b64 v[8:11], v18 offset1:224
	global_wb scope:SCOPE_SE
	s_wait_dscnt 0x0
	s_barrier_signal -1
	s_barrier_wait -1
	global_inv scope:SCOPE_SE
	ds_store_2addr_b64 v37, v[39:40], v[16:17] offset1:32
	ds_store_2addr_b64 v37, v[21:22], v[23:24] offset0:64 offset1:96
	ds_store_2addr_b64 v37, v[25:26], v[33:34] offset0:128 offset1:160
	ds_store_b64 v37, v[35:36] offset:1536
	global_wb scope:SCOPE_SE
	s_wait_dscnt 0x0
	s_barrier_signal -1
	s_barrier_wait -1
	global_inv scope:SCOPE_SE
	s_and_saveexec_b32 s26, vcc_lo
	s_cbranch_execz .LBB0_53
; %bb.52:
	v_mul_u32_u24_e32 v14, 6, v53
	s_delay_alu instid0(VALU_DEP_1)
	v_lshlrev_b32_e32 v34, 4, v14
	s_clause 0x5
	global_load_b128 v[14:17], v34, s[8:9] offset:3568
	global_load_b128 v[18:21], v34, s[8:9] offset:3616
	;; [unrolled: 1-line block ×6, first 2 shown]
	s_wait_loadcnt 0x5
	v_mul_f64_e32 v[42:43], v[4:5], v[16:17]
	s_wait_loadcnt 0x4
	v_mul_f64_e32 v[49:50], v[8:9], v[20:21]
	;; [unrolled: 2-line block ×4, first 2 shown]
	v_mul_f64_e32 v[58:59], v[4:5], v[14:15]
	v_mul_f64_e32 v[60:61], v[8:9], v[18:19]
	;; [unrolled: 1-line block ×4, first 2 shown]
	v_add_nc_u32_e32 v8, 0x2300, v54
	ds_load_2addr_stride64_b64 v[2:5], v54 offset0:7 offset1:14
	ds_load_2addr_b64 v[8:11], v8 offset1:224
	ds_load_2addr_b64 v[38:41], v54 offset1:224
	s_wait_loadcnt 0x1
	v_mul_f64_e32 v[53:54], v[6:7], v[30:31]
	s_wait_loadcnt 0x0
	v_mul_f64_e32 v[66:67], v[12:13], v[34:35]
	v_mul_f64_e32 v[12:13], v[12:13], v[36:37]
	;; [unrolled: 1-line block ×3, first 2 shown]
	s_wait_dscnt 0x2
	v_fma_f64 v[14:15], v[2:3], v[14:15], -v[42:43]
	s_wait_dscnt 0x1
	v_fma_f64 v[18:19], v[8:9], v[18:19], -v[49:50]
	;; [unrolled: 2-line block ×3, first 2 shown]
	v_fma_f64 v[26:27], v[10:11], v[26:27], -v[56:57]
	v_fma_f64 v[2:3], v[2:3], v[16:17], v[58:59]
	v_fma_f64 v[8:9], v[8:9], v[20:21], v[60:61]
	v_fma_f64 v[16:17], v[40:41], v[24:25], v[62:63]
	v_fma_f64 v[10:11], v[10:11], v[28:29], v[64:65]
	ds_load_b64 v[20:21], v55 offset:5376
	v_fma_f64 v[24:25], v[4:5], v[32:33], v[53:54]
	v_fma_f64 v[4:5], v[4:5], v[30:31], -v[6:7]
	s_wait_dscnt 0x0
	v_fma_f64 v[28:29], v[20:21], v[36:37], v[66:67]
	v_fma_f64 v[12:13], v[20:21], v[34:35], -v[12:13]
	v_add_f64_e32 v[6:7], v[14:15], v[18:19]
	v_add_f64_e32 v[20:21], v[22:23], v[26:27]
	;; [unrolled: 1-line block ×3, first 2 shown]
	v_add_f64_e64 v[2:3], v[2:3], -v[8:9]
	v_add_f64_e32 v[32:33], v[16:17], v[10:11]
	v_add_f64_e64 v[10:11], v[16:17], -v[10:11]
	v_add_f64_e64 v[34:35], v[24:25], -v[28:29]
	v_add_f64_e32 v[8:9], v[4:5], v[12:13]
	v_add_f64_e32 v[24:25], v[24:25], v[28:29]
	v_add_f64_e64 v[4:5], v[4:5], -v[12:13]
	v_add_f64_e64 v[12:13], v[14:15], -v[18:19]
	;; [unrolled: 1-line block ×3, first 2 shown]
	v_add_f64_e32 v[16:17], v[6:7], v[20:21]
	v_add_f64_e32 v[18:19], v[30:31], v[32:33]
	v_add_f64_e64 v[36:37], v[2:3], -v[10:11]
	v_add_f64_e64 v[22:23], v[34:35], -v[2:3]
	;; [unrolled: 1-line block ×4, first 2 shown]
	v_add_f64_e32 v[49:50], v[34:35], v[2:3]
	v_add_f64_e64 v[40:41], v[4:5], -v[12:13]
	v_add_f64_e64 v[42:43], v[12:13], -v[14:15]
	;; [unrolled: 1-line block ×3, first 2 shown]
	v_add_f64_e32 v[12:13], v[4:5], v[12:13]
	v_add_f64_e64 v[4:5], v[14:15], -v[4:5]
	v_add_f64_e32 v[16:17], v[8:9], v[16:17]
	v_add_f64_e64 v[8:9], v[8:9], -v[6:7]
	v_add_f64_e64 v[6:7], v[6:7], -v[20:21]
	v_add_f64_e32 v[18:19], v[24:25], v[18:19]
	v_add_f64_e64 v[24:25], v[24:25], -v[30:31]
	v_mul_f64_e32 v[51:52], s[0:1], v[36:37]
	v_add_f64_e64 v[30:31], v[30:31], -v[32:33]
	v_mul_f64_e32 v[22:23], s[12:13], v[22:23]
	v_mul_f64_e32 v[26:27], s[4:5], v[26:27]
	;; [unrolled: 1-line block ×3, first 2 shown]
	v_add_f64_e32 v[10:11], v[49:50], v[10:11]
	v_mov_b32_e32 v49, 0
	v_add_f64_e32 v[12:13], v[12:13], v[14:15]
	v_add_f64_e32 v[2:3], v[38:39], v[16:17]
	v_mul_f64_e32 v[20:21], s[14:15], v[8:9]
	v_mul_f64_e32 v[38:39], s[12:13], v[40:41]
	;; [unrolled: 1-line block ×3, first 2 shown]
	v_add_f64_e32 v[0:1], v[0:1], v[18:19]
	v_mul_f64_e32 v[32:33], s[14:15], v[24:25]
	v_fma_f64 v[14:15], v[34:35], s[20:21], v[22:23]
	v_fma_f64 v[8:9], v[8:9], s[14:15], v[26:27]
	;; [unrolled: 1-line block ×3, first 2 shown]
	v_fma_f64 v[34:35], v[34:35], s[22:23], -v[51:52]
	v_fma_f64 v[22:23], v[36:37], s[0:1], -v[22:23]
	;; [unrolled: 1-line block ×4, first 2 shown]
	v_fma_f64 v[16:17], v[16:17], s[10:11], v[2:3]
	v_fma_f64 v[6:7], v[6:7], s[16:17], -v[20:21]
	v_fma_f64 v[20:21], v[4:5], s[20:21], v[38:39]
	v_fma_f64 v[4:5], v[4:5], s[22:23], -v[40:41]
	v_fma_f64 v[36:37], v[42:43], s[0:1], -v[38:39]
	v_fma_f64 v[18:19], v[18:19], s[10:11], v[0:1]
	v_fma_f64 v[30:31], v[30:31], s[16:17], -v[32:33]
	v_mul_lo_u32 v42, s3, v46
	v_mul_lo_u32 v43, s2, v47
	v_mad_co_u64_u32 v[40:41], null, s2, v46, 0
	s_delay_alu instid0(VALU_DEP_1)
	v_add3_u32 v41, v41, v43, v42
	v_fma_f64 v[32:33], v[10:11], s[24:25], v[14:15]
	v_fma_f64 v[34:35], v[10:11], s[24:25], v[34:35]
	v_fma_f64 v[22:23], v[10:11], s[24:25], v[22:23]
	v_add_f64_e32 v[8:9], v[8:9], v[16:17]
	v_add_f64_e32 v[26:27], v[26:27], v[16:17]
	;; [unrolled: 1-line block ×3, first 2 shown]
	v_fma_f64 v[38:39], v[12:13], s[24:25], v[20:21]
	v_fma_f64 v[4:5], v[12:13], s[24:25], v[4:5]
	v_fma_f64 v[12:13], v[12:13], s[24:25], v[36:37]
	v_add_f64_e32 v[36:37], v[24:25], v[18:19]
	v_add_f64_e32 v[28:29], v[28:29], v[18:19]
	;; [unrolled: 1-line block ×5, first 2 shown]
	v_add_f64_e64 v[14:15], v[16:17], -v[22:23]
	v_add_f64_e32 v[18:19], v[22:23], v[16:17]
	v_add_f64_e64 v[22:23], v[26:27], -v[34:35]
	v_add_f64_e64 v[26:27], v[8:9], -v[32:33]
	v_add_f64_e32 v[24:25], v[38:39], v[36:37]
	v_add_f64_e32 v[20:21], v[4:5], v[28:29]
	v_add_f64_e64 v[16:17], v[30:31], -v[12:13]
	v_add_f64_e32 v[12:13], v[12:13], v[30:31]
	v_add_f64_e64 v[8:9], v[28:29], -v[4:5]
	v_add_f64_e64 v[4:5], v[36:37], -v[38:39]
	v_lshlrev_b64_e32 v[28:29], 4, v[40:41]
	v_lshlrev_b64_e32 v[30:31], 4, v[44:45]
	s_delay_alu instid0(VALU_DEP_2) | instskip(SKIP_1) | instid1(VALU_DEP_3)
	v_add_co_u32 v32, vcc_lo, s6, v28
	s_wait_alu 0xfffd
	v_add_co_ci_u32_e32 v33, vcc_lo, s7, v29, vcc_lo
	v_lshlrev_b64_e32 v[28:29], 4, v[48:49]
	s_delay_alu instid0(VALU_DEP_3) | instskip(SKIP_1) | instid1(VALU_DEP_3)
	v_add_co_u32 v30, vcc_lo, v32, v30
	s_wait_alu 0xfffd
	v_add_co_ci_u32_e32 v31, vcc_lo, v33, v31, vcc_lo
	s_delay_alu instid0(VALU_DEP_2) | instskip(SKIP_1) | instid1(VALU_DEP_2)
	v_add_co_u32 v28, vcc_lo, v30, v28
	s_wait_alu 0xfffd
	v_add_co_ci_u32_e32 v29, vcc_lo, v31, v29, vcc_lo
	s_clause 0x6
	global_store_b128 v[28:29], v[0:3], off
	global_store_b128 v[28:29], v[24:27], off offset:3584
	global_store_b128 v[28:29], v[20:23], off offset:7168
	;; [unrolled: 1-line block ×6, first 2 shown]
.LBB0_53:
	s_nop 0
	s_sendmsg sendmsg(MSG_DEALLOC_VGPRS)
	s_endpgm
	.section	.rodata,"a",@progbits
	.p2align	6, 0x0
	.amdhsa_kernel fft_rtc_back_len1568_factors_2_2_2_2_2_7_7_wgs_224_tpt_224_halfLds_dp_op_CI_CI_unitstride_sbrr_dirReg
		.amdhsa_group_segment_fixed_size 0
		.amdhsa_private_segment_fixed_size 0
		.amdhsa_kernarg_size 104
		.amdhsa_user_sgpr_count 2
		.amdhsa_user_sgpr_dispatch_ptr 0
		.amdhsa_user_sgpr_queue_ptr 0
		.amdhsa_user_sgpr_kernarg_segment_ptr 1
		.amdhsa_user_sgpr_dispatch_id 0
		.amdhsa_user_sgpr_private_segment_size 0
		.amdhsa_wavefront_size32 1
		.amdhsa_uses_dynamic_stack 0
		.amdhsa_enable_private_segment 0
		.amdhsa_system_sgpr_workgroup_id_x 1
		.amdhsa_system_sgpr_workgroup_id_y 0
		.amdhsa_system_sgpr_workgroup_id_z 0
		.amdhsa_system_sgpr_workgroup_info 0
		.amdhsa_system_vgpr_workitem_id 0
		.amdhsa_next_free_vgpr 74
		.amdhsa_next_free_sgpr 39
		.amdhsa_reserve_vcc 1
		.amdhsa_float_round_mode_32 0
		.amdhsa_float_round_mode_16_64 0
		.amdhsa_float_denorm_mode_32 3
		.amdhsa_float_denorm_mode_16_64 3
		.amdhsa_fp16_overflow 0
		.amdhsa_workgroup_processor_mode 1
		.amdhsa_memory_ordered 1
		.amdhsa_forward_progress 0
		.amdhsa_round_robin_scheduling 0
		.amdhsa_exception_fp_ieee_invalid_op 0
		.amdhsa_exception_fp_denorm_src 0
		.amdhsa_exception_fp_ieee_div_zero 0
		.amdhsa_exception_fp_ieee_overflow 0
		.amdhsa_exception_fp_ieee_underflow 0
		.amdhsa_exception_fp_ieee_inexact 0
		.amdhsa_exception_int_div_zero 0
	.end_amdhsa_kernel
	.text
.Lfunc_end0:
	.size	fft_rtc_back_len1568_factors_2_2_2_2_2_7_7_wgs_224_tpt_224_halfLds_dp_op_CI_CI_unitstride_sbrr_dirReg, .Lfunc_end0-fft_rtc_back_len1568_factors_2_2_2_2_2_7_7_wgs_224_tpt_224_halfLds_dp_op_CI_CI_unitstride_sbrr_dirReg
                                        ; -- End function
	.section	.AMDGPU.csdata,"",@progbits
; Kernel info:
; codeLenInByte = 7468
; NumSgprs: 41
; NumVgprs: 74
; ScratchSize: 0
; MemoryBound: 1
; FloatMode: 240
; IeeeMode: 1
; LDSByteSize: 0 bytes/workgroup (compile time only)
; SGPRBlocks: 5
; VGPRBlocks: 9
; NumSGPRsForWavesPerEU: 41
; NumVGPRsForWavesPerEU: 74
; Occupancy: 16
; WaveLimiterHint : 1
; COMPUTE_PGM_RSRC2:SCRATCH_EN: 0
; COMPUTE_PGM_RSRC2:USER_SGPR: 2
; COMPUTE_PGM_RSRC2:TRAP_HANDLER: 0
; COMPUTE_PGM_RSRC2:TGID_X_EN: 1
; COMPUTE_PGM_RSRC2:TGID_Y_EN: 0
; COMPUTE_PGM_RSRC2:TGID_Z_EN: 0
; COMPUTE_PGM_RSRC2:TIDIG_COMP_CNT: 0
	.text
	.p2alignl 7, 3214868480
	.fill 96, 4, 3214868480
	.type	__hip_cuid_ef6bcaab0ccc0eba,@object ; @__hip_cuid_ef6bcaab0ccc0eba
	.section	.bss,"aw",@nobits
	.globl	__hip_cuid_ef6bcaab0ccc0eba
__hip_cuid_ef6bcaab0ccc0eba:
	.byte	0                               ; 0x0
	.size	__hip_cuid_ef6bcaab0ccc0eba, 1

	.ident	"AMD clang version 19.0.0git (https://github.com/RadeonOpenCompute/llvm-project roc-6.4.0 25133 c7fe45cf4b819c5991fe208aaa96edf142730f1d)"
	.section	".note.GNU-stack","",@progbits
	.addrsig
	.addrsig_sym __hip_cuid_ef6bcaab0ccc0eba
	.amdgpu_metadata
---
amdhsa.kernels:
  - .args:
      - .actual_access:  read_only
        .address_space:  global
        .offset:         0
        .size:           8
        .value_kind:     global_buffer
      - .offset:         8
        .size:           8
        .value_kind:     by_value
      - .actual_access:  read_only
        .address_space:  global
        .offset:         16
        .size:           8
        .value_kind:     global_buffer
      - .actual_access:  read_only
        .address_space:  global
        .offset:         24
        .size:           8
        .value_kind:     global_buffer
      - .actual_access:  read_only
        .address_space:  global
        .offset:         32
        .size:           8
        .value_kind:     global_buffer
      - .offset:         40
        .size:           8
        .value_kind:     by_value
      - .actual_access:  read_only
        .address_space:  global
        .offset:         48
        .size:           8
        .value_kind:     global_buffer
      - .actual_access:  read_only
        .address_space:  global
        .offset:         56
        .size:           8
        .value_kind:     global_buffer
      - .offset:         64
        .size:           4
        .value_kind:     by_value
      - .actual_access:  read_only
        .address_space:  global
        .offset:         72
        .size:           8
        .value_kind:     global_buffer
      - .actual_access:  read_only
        .address_space:  global
        .offset:         80
        .size:           8
        .value_kind:     global_buffer
      - .actual_access:  read_only
        .address_space:  global
        .offset:         88
        .size:           8
        .value_kind:     global_buffer
      - .actual_access:  write_only
        .address_space:  global
        .offset:         96
        .size:           8
        .value_kind:     global_buffer
    .group_segment_fixed_size: 0
    .kernarg_segment_align: 8
    .kernarg_segment_size: 104
    .language:       OpenCL C
    .language_version:
      - 2
      - 0
    .max_flat_workgroup_size: 224
    .name:           fft_rtc_back_len1568_factors_2_2_2_2_2_7_7_wgs_224_tpt_224_halfLds_dp_op_CI_CI_unitstride_sbrr_dirReg
    .private_segment_fixed_size: 0
    .sgpr_count:     41
    .sgpr_spill_count: 0
    .symbol:         fft_rtc_back_len1568_factors_2_2_2_2_2_7_7_wgs_224_tpt_224_halfLds_dp_op_CI_CI_unitstride_sbrr_dirReg.kd
    .uniform_work_group_size: 1
    .uses_dynamic_stack: false
    .vgpr_count:     74
    .vgpr_spill_count: 0
    .wavefront_size: 32
    .workgroup_processor_mode: 1
amdhsa.target:   amdgcn-amd-amdhsa--gfx1201
amdhsa.version:
  - 1
  - 2
...

	.end_amdgpu_metadata
